;; amdgpu-corpus repo=ROCm/rocFFT kind=compiled arch=gfx1201 opt=O3
	.text
	.amdgcn_target "amdgcn-amd-amdhsa--gfx1201"
	.amdhsa_code_object_version 6
	.protected	fft_rtc_back_len1617_factors_3_7_7_11_wgs_231_tpt_231_half_op_CI_CI_sbrr_dirReg ; -- Begin function fft_rtc_back_len1617_factors_3_7_7_11_wgs_231_tpt_231_half_op_CI_CI_sbrr_dirReg
	.globl	fft_rtc_back_len1617_factors_3_7_7_11_wgs_231_tpt_231_half_op_CI_CI_sbrr_dirReg
	.p2align	8
	.type	fft_rtc_back_len1617_factors_3_7_7_11_wgs_231_tpt_231_half_op_CI_CI_sbrr_dirReg,@function
fft_rtc_back_len1617_factors_3_7_7_11_wgs_231_tpt_231_half_op_CI_CI_sbrr_dirReg: ; @fft_rtc_back_len1617_factors_3_7_7_11_wgs_231_tpt_231_half_op_CI_CI_sbrr_dirReg
; %bb.0:
	s_clause 0x2
	s_load_b128 s[12:15], s[0:1], 0x18
	s_load_b128 s[8:11], s[0:1], 0x0
	;; [unrolled: 1-line block ×3, first 2 shown]
	v_mul_u32_u24_e32 v1, 0x11c, v0
	v_mov_b32_e32 v3, 0
	s_wait_kmcnt 0x0
	s_load_b64 s[18:19], s[12:13], 0x0
	s_load_b64 s[16:17], s[14:15], 0x0
	v_lshrrev_b32_e32 v1, 16, v1
	v_cmp_lt_u64_e64 s2, s[10:11], 2
	s_delay_alu instid0(VALU_DEP_2)
	v_add_nc_u32_e32 v5, ttmp9, v1
	v_mov_b32_e32 v1, 0
	v_mov_b32_e32 v2, 0
	;; [unrolled: 1-line block ×3, first 2 shown]
	s_and_b32 vcc_lo, exec_lo, s2
	s_cbranch_vccnz .LBB0_8
; %bb.1:
	s_load_b64 s[2:3], s[0:1], 0x10
	v_mov_b32_e32 v1, 0
	v_mov_b32_e32 v2, 0
	s_add_nc_u64 s[20:21], s[14:15], 8
	s_add_nc_u64 s[22:23], s[12:13], 8
	s_mov_b64 s[24:25], 1
	s_delay_alu instid0(VALU_DEP_1)
	v_dual_mov_b32 v9, v2 :: v_dual_mov_b32 v8, v1
	s_wait_kmcnt 0x0
	s_add_nc_u64 s[26:27], s[2:3], 8
	s_mov_b32 s3, 0
.LBB0_2:                                ; =>This Inner Loop Header: Depth=1
	s_load_b64 s[28:29], s[26:27], 0x0
                                        ; implicit-def: $vgpr14_vgpr15
	s_mov_b32 s2, exec_lo
	s_wait_kmcnt 0x0
	v_or_b32_e32 v4, s29, v6
	s_delay_alu instid0(VALU_DEP_1)
	v_cmpx_ne_u64_e32 0, v[3:4]
	s_wait_alu 0xfffe
	s_xor_b32 s30, exec_lo, s2
	s_cbranch_execz .LBB0_4
; %bb.3:                                ;   in Loop: Header=BB0_2 Depth=1
	s_cvt_f32_u32 s2, s28
	s_cvt_f32_u32 s31, s29
	s_sub_nc_u64 s[36:37], 0, s[28:29]
	s_wait_alu 0xfffe
	s_delay_alu instid0(SALU_CYCLE_1) | instskip(SKIP_1) | instid1(SALU_CYCLE_2)
	s_fmamk_f32 s2, s31, 0x4f800000, s2
	s_wait_alu 0xfffe
	v_s_rcp_f32 s2, s2
	s_delay_alu instid0(TRANS32_DEP_1) | instskip(SKIP_1) | instid1(SALU_CYCLE_2)
	s_mul_f32 s2, s2, 0x5f7ffffc
	s_wait_alu 0xfffe
	s_mul_f32 s31, s2, 0x2f800000
	s_wait_alu 0xfffe
	s_delay_alu instid0(SALU_CYCLE_2) | instskip(SKIP_1) | instid1(SALU_CYCLE_2)
	s_trunc_f32 s31, s31
	s_wait_alu 0xfffe
	s_fmamk_f32 s2, s31, 0xcf800000, s2
	s_cvt_u32_f32 s35, s31
	s_wait_alu 0xfffe
	s_delay_alu instid0(SALU_CYCLE_1) | instskip(SKIP_1) | instid1(SALU_CYCLE_2)
	s_cvt_u32_f32 s34, s2
	s_wait_alu 0xfffe
	s_mul_u64 s[38:39], s[36:37], s[34:35]
	s_wait_alu 0xfffe
	s_mul_hi_u32 s41, s34, s39
	s_mul_i32 s40, s34, s39
	s_mul_hi_u32 s2, s34, s38
	s_mul_i32 s33, s35, s38
	s_wait_alu 0xfffe
	s_add_nc_u64 s[40:41], s[2:3], s[40:41]
	s_mul_hi_u32 s31, s35, s38
	s_mul_hi_u32 s42, s35, s39
	s_add_co_u32 s2, s40, s33
	s_wait_alu 0xfffe
	s_add_co_ci_u32 s2, s41, s31
	s_mul_i32 s38, s35, s39
	s_add_co_ci_u32 s39, s42, 0
	s_wait_alu 0xfffe
	s_add_nc_u64 s[38:39], s[2:3], s[38:39]
	s_wait_alu 0xfffe
	v_add_co_u32 v4, s2, s34, s38
	s_delay_alu instid0(VALU_DEP_1) | instskip(SKIP_1) | instid1(VALU_DEP_1)
	s_cmp_lg_u32 s2, 0
	s_add_co_ci_u32 s35, s35, s39
	v_readfirstlane_b32 s34, v4
	s_wait_alu 0xfffe
	s_delay_alu instid0(VALU_DEP_1)
	s_mul_u64 s[36:37], s[36:37], s[34:35]
	s_wait_alu 0xfffe
	s_mul_hi_u32 s39, s34, s37
	s_mul_i32 s38, s34, s37
	s_mul_hi_u32 s2, s34, s36
	s_mul_i32 s33, s35, s36
	s_wait_alu 0xfffe
	s_add_nc_u64 s[38:39], s[2:3], s[38:39]
	s_mul_hi_u32 s31, s35, s36
	s_mul_hi_u32 s34, s35, s37
	s_wait_alu 0xfffe
	s_add_co_u32 s2, s38, s33
	s_add_co_ci_u32 s2, s39, s31
	s_mul_i32 s36, s35, s37
	s_add_co_ci_u32 s37, s34, 0
	s_wait_alu 0xfffe
	s_add_nc_u64 s[36:37], s[2:3], s[36:37]
	s_wait_alu 0xfffe
	v_add_co_u32 v4, s2, v4, s36
	s_delay_alu instid0(VALU_DEP_1) | instskip(SKIP_1) | instid1(VALU_DEP_1)
	s_cmp_lg_u32 s2, 0
	s_add_co_ci_u32 s2, s35, s37
	v_mul_hi_u32 v7, v5, v4
	s_wait_alu 0xfffe
	v_mad_co_u64_u32 v[10:11], null, v5, s2, 0
	v_mad_co_u64_u32 v[12:13], null, v6, v4, 0
	;; [unrolled: 1-line block ×3, first 2 shown]
	s_delay_alu instid0(VALU_DEP_3) | instskip(SKIP_1) | instid1(VALU_DEP_4)
	v_add_co_u32 v4, vcc_lo, v7, v10
	s_wait_alu 0xfffd
	v_add_co_ci_u32_e32 v7, vcc_lo, 0, v11, vcc_lo
	s_delay_alu instid0(VALU_DEP_2) | instskip(SKIP_1) | instid1(VALU_DEP_2)
	v_add_co_u32 v4, vcc_lo, v4, v12
	s_wait_alu 0xfffd
	v_add_co_ci_u32_e32 v4, vcc_lo, v7, v13, vcc_lo
	s_wait_alu 0xfffd
	v_add_co_ci_u32_e32 v7, vcc_lo, 0, v15, vcc_lo
	s_delay_alu instid0(VALU_DEP_2) | instskip(SKIP_1) | instid1(VALU_DEP_2)
	v_add_co_u32 v4, vcc_lo, v4, v14
	s_wait_alu 0xfffd
	v_add_co_ci_u32_e32 v7, vcc_lo, 0, v7, vcc_lo
	s_delay_alu instid0(VALU_DEP_2) | instskip(SKIP_1) | instid1(VALU_DEP_3)
	v_mul_lo_u32 v12, s29, v4
	v_mad_co_u64_u32 v[10:11], null, s28, v4, 0
	v_mul_lo_u32 v13, s28, v7
	s_delay_alu instid0(VALU_DEP_2) | instskip(NEXT) | instid1(VALU_DEP_2)
	v_sub_co_u32 v10, vcc_lo, v5, v10
	v_add3_u32 v11, v11, v13, v12
	s_delay_alu instid0(VALU_DEP_1) | instskip(SKIP_1) | instid1(VALU_DEP_1)
	v_sub_nc_u32_e32 v12, v6, v11
	s_wait_alu 0xfffd
	v_subrev_co_ci_u32_e64 v12, s2, s29, v12, vcc_lo
	v_add_co_u32 v13, s2, v4, 2
	s_wait_alu 0xf1ff
	v_add_co_ci_u32_e64 v14, s2, 0, v7, s2
	v_sub_co_u32 v15, s2, v10, s28
	v_sub_co_ci_u32_e32 v11, vcc_lo, v6, v11, vcc_lo
	s_wait_alu 0xf1ff
	v_subrev_co_ci_u32_e64 v12, s2, 0, v12, s2
	s_delay_alu instid0(VALU_DEP_3) | instskip(NEXT) | instid1(VALU_DEP_3)
	v_cmp_le_u32_e32 vcc_lo, s28, v15
	v_cmp_eq_u32_e64 s2, s29, v11
	s_wait_alu 0xfffd
	v_cndmask_b32_e64 v15, 0, -1, vcc_lo
	v_cmp_le_u32_e32 vcc_lo, s29, v12
	s_wait_alu 0xfffd
	v_cndmask_b32_e64 v16, 0, -1, vcc_lo
	v_cmp_le_u32_e32 vcc_lo, s28, v10
	;; [unrolled: 3-line block ×3, first 2 shown]
	s_wait_alu 0xfffd
	v_cndmask_b32_e64 v17, 0, -1, vcc_lo
	v_cmp_eq_u32_e32 vcc_lo, s29, v12
	s_wait_alu 0xf1ff
	s_delay_alu instid0(VALU_DEP_2)
	v_cndmask_b32_e64 v10, v17, v10, s2
	s_wait_alu 0xfffd
	v_cndmask_b32_e32 v12, v16, v15, vcc_lo
	v_add_co_u32 v15, vcc_lo, v4, 1
	s_wait_alu 0xfffd
	v_add_co_ci_u32_e32 v16, vcc_lo, 0, v7, vcc_lo
	s_delay_alu instid0(VALU_DEP_3) | instskip(SKIP_1) | instid1(VALU_DEP_2)
	v_cmp_ne_u32_e32 vcc_lo, 0, v12
	s_wait_alu 0xfffd
	v_dual_cndmask_b32 v11, v16, v14 :: v_dual_cndmask_b32 v12, v15, v13
	v_cmp_ne_u32_e32 vcc_lo, 0, v10
	s_wait_alu 0xfffd
	s_delay_alu instid0(VALU_DEP_2)
	v_dual_cndmask_b32 v15, v7, v11 :: v_dual_cndmask_b32 v14, v4, v12
.LBB0_4:                                ;   in Loop: Header=BB0_2 Depth=1
	s_wait_alu 0xfffe
	s_and_not1_saveexec_b32 s2, s30
	s_cbranch_execz .LBB0_6
; %bb.5:                                ;   in Loop: Header=BB0_2 Depth=1
	v_cvt_f32_u32_e32 v4, s28
	s_sub_co_i32 s30, 0, s28
	v_mov_b32_e32 v15, v3
	s_delay_alu instid0(VALU_DEP_2) | instskip(NEXT) | instid1(TRANS32_DEP_1)
	v_rcp_iflag_f32_e32 v4, v4
	v_mul_f32_e32 v4, 0x4f7ffffe, v4
	s_delay_alu instid0(VALU_DEP_1) | instskip(SKIP_1) | instid1(VALU_DEP_1)
	v_cvt_u32_f32_e32 v4, v4
	s_wait_alu 0xfffe
	v_mul_lo_u32 v7, s30, v4
	s_delay_alu instid0(VALU_DEP_1) | instskip(NEXT) | instid1(VALU_DEP_1)
	v_mul_hi_u32 v7, v4, v7
	v_add_nc_u32_e32 v4, v4, v7
	s_delay_alu instid0(VALU_DEP_1) | instskip(NEXT) | instid1(VALU_DEP_1)
	v_mul_hi_u32 v4, v5, v4
	v_mul_lo_u32 v7, v4, s28
	v_add_nc_u32_e32 v10, 1, v4
	s_delay_alu instid0(VALU_DEP_2) | instskip(NEXT) | instid1(VALU_DEP_1)
	v_sub_nc_u32_e32 v7, v5, v7
	v_subrev_nc_u32_e32 v11, s28, v7
	v_cmp_le_u32_e32 vcc_lo, s28, v7
	s_wait_alu 0xfffd
	s_delay_alu instid0(VALU_DEP_2) | instskip(NEXT) | instid1(VALU_DEP_1)
	v_dual_cndmask_b32 v7, v7, v11 :: v_dual_cndmask_b32 v4, v4, v10
	v_cmp_le_u32_e32 vcc_lo, s28, v7
	s_delay_alu instid0(VALU_DEP_2) | instskip(SKIP_1) | instid1(VALU_DEP_1)
	v_add_nc_u32_e32 v10, 1, v4
	s_wait_alu 0xfffd
	v_cndmask_b32_e32 v14, v4, v10, vcc_lo
.LBB0_6:                                ;   in Loop: Header=BB0_2 Depth=1
	s_wait_alu 0xfffe
	s_or_b32 exec_lo, exec_lo, s2
	v_mul_lo_u32 v4, v15, s28
	s_delay_alu instid0(VALU_DEP_2)
	v_mul_lo_u32 v7, v14, s29
	s_load_b64 s[30:31], s[22:23], 0x0
	v_mad_co_u64_u32 v[10:11], null, v14, s28, 0
	s_load_b64 s[28:29], s[20:21], 0x0
	s_add_nc_u64 s[24:25], s[24:25], 1
	s_add_nc_u64 s[20:21], s[20:21], 8
	s_wait_alu 0xfffe
	v_cmp_ge_u64_e64 s2, s[24:25], s[10:11]
	s_add_nc_u64 s[22:23], s[22:23], 8
	s_add_nc_u64 s[26:27], s[26:27], 8
	v_add3_u32 v4, v11, v7, v4
	v_sub_co_u32 v5, vcc_lo, v5, v10
	s_wait_alu 0xfffd
	s_delay_alu instid0(VALU_DEP_2) | instskip(SKIP_2) | instid1(VALU_DEP_1)
	v_sub_co_ci_u32_e32 v4, vcc_lo, v6, v4, vcc_lo
	s_and_b32 vcc_lo, exec_lo, s2
	s_wait_kmcnt 0x0
	v_mul_lo_u32 v6, s30, v4
	v_mul_lo_u32 v7, s31, v5
	v_mad_co_u64_u32 v[1:2], null, s30, v5, v[1:2]
	v_mul_lo_u32 v4, s28, v4
	v_mul_lo_u32 v10, s29, v5
	v_mad_co_u64_u32 v[8:9], null, s28, v5, v[8:9]
	s_delay_alu instid0(VALU_DEP_4) | instskip(NEXT) | instid1(VALU_DEP_2)
	v_add3_u32 v2, v7, v2, v6
	v_add3_u32 v9, v10, v9, v4
	s_wait_alu 0xfffe
	s_cbranch_vccnz .LBB0_9
; %bb.7:                                ;   in Loop: Header=BB0_2 Depth=1
	v_dual_mov_b32 v5, v14 :: v_dual_mov_b32 v6, v15
	s_branch .LBB0_2
.LBB0_8:
	s_delay_alu instid0(VALU_DEP_2) | instskip(NEXT) | instid1(VALU_DEP_2)
	v_dual_mov_b32 v9, v2 :: v_dual_mov_b32 v8, v1
	v_dual_mov_b32 v15, v6 :: v_dual_mov_b32 v14, v5
.LBB0_9:
	s_load_b64 s[0:1], s[0:1], 0x28
	v_mul_hi_u32 v17, 0x11bb4a5, v0
	s_lshl_b64 s[10:11], s[10:11], 3
                                        ; implicit-def: $vgpr26
                                        ; implicit-def: $vgpr3
	s_wait_alu 0xfffe
	s_add_nc_u64 s[2:3], s[14:15], s[10:11]
	s_wait_kmcnt 0x0
	v_cmp_gt_u64_e32 vcc_lo, s[0:1], v[14:15]
	v_cmp_le_u64_e64 s0, s[0:1], v[14:15]
	s_delay_alu instid0(VALU_DEP_1)
	s_and_saveexec_b32 s1, s0
	s_wait_alu 0xfffe
	s_xor_b32 s0, exec_lo, s1
; %bb.10:
	v_mul_u32_u24_e32 v1, 0xe7, v17
                                        ; implicit-def: $vgpr17
	s_delay_alu instid0(VALU_DEP_1) | instskip(NEXT) | instid1(VALU_DEP_1)
	v_sub_nc_u32_e32 v26, v0, v1
                                        ; implicit-def: $vgpr0
                                        ; implicit-def: $vgpr1_vgpr2
	v_add_nc_u32_e32 v3, 0xe7, v26
; %bb.11:
	s_wait_alu 0xfffe
	s_or_saveexec_b32 s1, s0
	s_load_b64 s[2:3], s[2:3], 0x0
                                        ; implicit-def: $vgpr16
                                        ; implicit-def: $vgpr12
                                        ; implicit-def: $vgpr13
                                        ; implicit-def: $vgpr5
                                        ; implicit-def: $vgpr6
                                        ; implicit-def: $vgpr4
                                        ; implicit-def: $vgpr10
                                        ; implicit-def: $vgpr11
                                        ; implicit-def: $vgpr7
	s_xor_b32 exec_lo, exec_lo, s1
	s_cbranch_execz .LBB0_15
; %bb.12:
	s_add_nc_u64 s[10:11], s[12:13], s[10:11]
	v_mul_u32_u24_e32 v3, 0xe7, v17
	s_load_b64 s[10:11], s[10:11], 0x0
	s_delay_alu instid0(VALU_DEP_1) | instskip(SKIP_1) | instid1(VALU_DEP_2)
	v_sub_nc_u32_e32 v26, v0, v3
	v_lshlrev_b64_e32 v[0:1], 2, v[1:2]
	v_mad_co_u64_u32 v[4:5], null, s18, v26, 0
	v_add_nc_u32_e32 v21, 0x21b, v26
	v_add_nc_u32_e32 v22, 0x436, v26
	s_delay_alu instid0(VALU_DEP_1) | instskip(NEXT) | instid1(VALU_DEP_4)
	v_mad_co_u64_u32 v[10:11], null, s18, v22, 0
	v_mov_b32_e32 v2, v5
	s_wait_kmcnt 0x0
	v_mul_lo_u32 v5, s11, v14
	v_mul_lo_u32 v23, s10, v15
	v_mad_co_u64_u32 v[12:13], null, s10, v14, 0
	v_mad_co_u64_u32 v[6:7], null, s18, v21, 0
	v_add_nc_u32_e32 v3, 0xe7, v26
	s_delay_alu instid0(VALU_DEP_3) | instskip(NEXT) | instid1(VALU_DEP_2)
	v_add3_u32 v13, v13, v23, v5
	v_mad_co_u64_u32 v[18:19], null, s19, v26, v[2:3]
	s_delay_alu instid0(VALU_DEP_4) | instskip(SKIP_1) | instid1(VALU_DEP_4)
	v_mov_b32_e32 v2, v7
	v_mad_co_u64_u32 v[16:17], null, s18, v3, 0
	v_lshlrev_b64_e32 v[12:13], 2, v[12:13]
	v_dual_mov_b32 v7, v11 :: v_dual_add_nc_u32 v24, 0x302, v26
	v_mov_b32_e32 v5, v18
	s_delay_alu instid0(VALU_DEP_4)
	v_mov_b32_e32 v11, v17
	v_mad_co_u64_u32 v[17:18], null, s19, v21, v[2:3]
	v_add_co_u32 v2, s0, s4, v12
	v_mad_co_u64_u32 v[19:20], null, s18, v24, 0
	s_wait_alu 0xf1ff
	v_add_co_ci_u32_e64 v12, s0, s5, v13, s0
	s_delay_alu instid0(VALU_DEP_3) | instskip(SKIP_2) | instid1(VALU_DEP_3)
	v_add_co_u32 v0, s0, v2, v0
	v_add_nc_u32_e32 v25, 0x51d, v26
	s_wait_alu 0xf1ff
	v_add_co_ci_u32_e64 v1, s0, v12, v1, s0
	v_mov_b32_e32 v2, v20
	v_mad_co_u64_u32 v[12:13], null, s19, v3, v[11:12]
	v_mad_co_u64_u32 v[21:22], null, s19, v22, v[7:8]
	;; [unrolled: 1-line block ×3, first 2 shown]
	v_mov_b32_e32 v7, v17
	s_mov_b32 s4, exec_lo
	s_delay_alu instid0(VALU_DEP_4) | instskip(SKIP_1) | instid1(VALU_DEP_4)
	v_mov_b32_e32 v17, v12
	v_mad_co_u64_u32 v[12:13], null, s19, v24, v[2:3]
	v_dual_mov_b32 v11, v21 :: v_dual_mov_b32 v2, v23
	v_lshlrev_b64_e32 v[4:5], 2, v[4:5]
	s_delay_alu instid0(VALU_DEP_4) | instskip(NEXT) | instid1(VALU_DEP_3)
	v_lshlrev_b64_e32 v[16:17], 2, v[16:17]
	v_lshlrev_b64_e32 v[10:11], 2, v[10:11]
	v_mov_b32_e32 v20, v12
	v_lshlrev_b64_e32 v[6:7], 2, v[6:7]
	v_add_co_u32 v4, s0, v0, v4
	s_wait_alu 0xf1ff
	v_add_co_ci_u32_e64 v5, s0, v1, v5, s0
	v_mad_co_u64_u32 v[23:24], null, s19, v25, v[2:3]
	s_delay_alu instid0(VALU_DEP_4)
	v_add_co_u32 v6, s0, v0, v6
	s_wait_alu 0xf1ff
	v_add_co_ci_u32_e64 v7, s0, v1, v7, s0
	v_add_co_u32 v12, s0, v0, v10
	s_wait_alu 0xf1ff
	v_add_co_ci_u32_e64 v13, s0, v1, v11, s0
	v_lshlrev_b64_e32 v[10:11], 2, v[19:20]
	v_add_co_u32 v16, s0, v0, v16
	v_lshlrev_b64_e32 v[18:19], 2, v[22:23]
	s_wait_alu 0xf1ff
	v_add_co_ci_u32_e64 v17, s0, v1, v17, s0
	s_delay_alu instid0(VALU_DEP_4)
	v_add_co_u32 v20, s0, v0, v10
	s_wait_alu 0xf1ff
	v_add_co_ci_u32_e64 v21, s0, v1, v11, s0
	v_add_co_u32 v18, s0, v0, v18
	s_wait_alu 0xf1ff
	v_add_co_ci_u32_e64 v19, s0, v1, v19, s0
	s_clause 0x5
	global_load_b32 v10, v[4:5], off
	global_load_b32 v11, v[6:7], off
	;; [unrolled: 1-line block ×6, first 2 shown]
                                        ; implicit-def: $vgpr13
                                        ; implicit-def: $vgpr12
                                        ; implicit-def: $vgpr16
	v_cmpx_gt_u32_e32 0x4d, v26
	s_cbranch_execz .LBB0_14
; %bb.13:
	v_add_nc_u32_e32 v21, 0x3e9, v26
	v_add_nc_u32_e32 v22, 0x604, v26
	s_delay_alu instid0(VALU_DEP_2) | instskip(SKIP_1) | instid1(VALU_DEP_3)
	v_mad_co_u64_u32 v[16:17], null, s18, v21, 0
	v_add_nc_u32_e32 v20, 0x1ce, v26
	v_mad_co_u64_u32 v[18:19], null, s18, v22, 0
	s_delay_alu instid0(VALU_DEP_2) | instskip(NEXT) | instid1(VALU_DEP_1)
	v_mad_co_u64_u32 v[12:13], null, s18, v20, 0
	v_dual_mov_b32 v2, v13 :: v_dual_mov_b32 v13, v17
	s_delay_alu instid0(VALU_DEP_3) | instskip(NEXT) | instid1(VALU_DEP_2)
	v_mov_b32_e32 v17, v19
	v_mad_co_u64_u32 v[19:20], null, s19, v20, v[2:3]
	s_delay_alu instid0(VALU_DEP_3) | instskip(NEXT) | instid1(VALU_DEP_3)
	v_mad_co_u64_u32 v[20:21], null, s19, v21, v[13:14]
	v_mad_co_u64_u32 v[21:22], null, s19, v22, v[17:18]
	s_delay_alu instid0(VALU_DEP_3) | instskip(NEXT) | instid1(VALU_DEP_3)
	v_mov_b32_e32 v13, v19
	v_mov_b32_e32 v17, v20
	s_delay_alu instid0(VALU_DEP_3) | instskip(NEXT) | instid1(VALU_DEP_3)
	v_mov_b32_e32 v19, v21
	v_lshlrev_b64_e32 v[12:13], 2, v[12:13]
	s_delay_alu instid0(VALU_DEP_3) | instskip(NEXT) | instid1(VALU_DEP_3)
	v_lshlrev_b64_e32 v[16:17], 2, v[16:17]
	v_lshlrev_b64_e32 v[18:19], 2, v[18:19]
	s_delay_alu instid0(VALU_DEP_3) | instskip(SKIP_1) | instid1(VALU_DEP_4)
	v_add_co_u32 v12, s0, v0, v12
	s_wait_alu 0xf1ff
	v_add_co_ci_u32_e64 v13, s0, v1, v13, s0
	s_delay_alu instid0(VALU_DEP_4)
	v_add_co_u32 v16, s0, v0, v16
	s_wait_alu 0xf1ff
	v_add_co_ci_u32_e64 v17, s0, v1, v17, s0
	v_add_co_u32 v0, s0, v0, v18
	s_wait_alu 0xf1ff
	v_add_co_ci_u32_e64 v1, s0, v1, v19, s0
	s_clause 0x2
	global_load_b32 v13, v[12:13], off
	global_load_b32 v16, v[16:17], off
	;; [unrolled: 1-line block ×3, first 2 shown]
.LBB0_14:
	s_wait_alu 0xfffe
	s_or_b32 exec_lo, exec_lo, s4
.LBB0_15:
	s_delay_alu instid0(SALU_CYCLE_1)
	s_or_b32 exec_lo, exec_lo, s1
	s_wait_loadcnt 0x0
	v_pk_add_f16 v1, v12, v16
	v_pk_add_f16 v17, v10, v11
	;; [unrolled: 1-line block ×3, first 2 shown]
	v_pk_add_f16 v11, v11, v7 neg_lo:[0,1] neg_hi:[0,1]
	v_pk_add_f16 v19, v6, v4
	v_pk_add_f16 v20, v6, v4 neg_lo:[0,1] neg_hi:[0,1]
	v_pk_add_f16 v2, v16, v12 neg_lo:[0,1] neg_hi:[0,1]
	v_pk_fma_f16 v1, v1, 0.5, v13 op_sel_hi:[1,0,1] neg_lo:[1,0,0] neg_hi:[1,0,0]
	v_pk_fma_f16 v10, v18, 0.5, v10 op_sel_hi:[1,0,1] neg_lo:[1,0,0] neg_hi:[1,0,0]
	v_pk_mul_f16 v18, 0x3aee, v11 op_sel_hi:[0,1]
	v_pk_fma_f16 v19, v19, 0.5, v5 op_sel_hi:[1,0,1] neg_lo:[1,0,0] neg_hi:[1,0,0]
	v_pk_mul_f16 v20, 0x3aee, v20 op_sel_hi:[0,1]
	v_pk_fma_f16 v27, 0x3aee, v2, v1 op_sel:[0,0,1] op_sel_hi:[0,1,0] neg_lo:[0,1,0] neg_hi:[0,1,0]
	v_pk_fma_f16 v28, 0x3aee, v2, v1 op_sel:[0,0,1] op_sel_hi:[0,1,0]
	v_pk_add_f16 v1, v10, v18 op_sel:[0,1] op_sel_hi:[1,0] neg_lo:[0,1] neg_hi:[0,1]
	v_pk_add_f16 v2, v10, v18 op_sel:[0,1] op_sel_hi:[1,0]
	v_pk_add_f16 v5, v5, v6
	v_pk_add_f16 v6, v19, v20 op_sel:[0,1] op_sel_hi:[1,0] neg_lo:[0,1] neg_hi:[0,1]
	v_pk_add_f16 v10, v19, v20 op_sel:[0,1] op_sel_hi:[1,0]
	v_mad_u32_u24 v0, v26, 12, 0
	v_lshrrev_b32_e32 v11, 16, v27
	v_pk_add_f16 v7, v17, v7
	v_bfi_b32 v17, 0xffff, v1, v2
	v_bfi_b32 v1, 0xffff, v2, v1
	v_mad_i32_i24 v2, v3, 12, 0
	v_pk_add_f16 v4, v5, v4
	v_bfi_b32 v5, 0xffff, v6, v10
	v_bfi_b32 v6, 0xffff, v10, v6
	s_mov_b32 s1, exec_lo
	ds_store_2addr_b32 v0, v7, v17 offset1:1
	ds_store_b32 v0, v1 offset:8
	ds_store_2addr_b32 v2, v4, v5 offset1:1
	ds_store_b32 v2, v6 offset:8
	v_cmpx_gt_u32_e32 0x4d, v26
	s_cbranch_execz .LBB0_17
; %bb.16:
	v_pk_add_f16 v1, v16, v13
	v_add_nc_u32_e32 v4, 0x15ac, v0
	v_perm_b32 v5, v28, v11, 0x5040100
	v_alignbit_b32 v6, v27, v28, 16
	s_delay_alu instid0(VALU_DEP_4)
	v_pk_add_f16 v1, v12, v1
	ds_store_b32 v0, v1 offset:5544
	ds_store_2addr_b32 v4, v5, v6 offset1:1
.LBB0_17:
	s_wait_alu 0xfffe
	s_or_b32 exec_lo, exec_lo, s1
	v_and_b32_e32 v1, 0xff, v26
	global_wb scope:SCOPE_SE
	s_wait_dscnt 0x0
	s_wait_kmcnt 0x0
	s_barrier_signal -1
	s_barrier_wait -1
	global_inv scope:SCOPE_SE
	v_mul_lo_u16 v4, 0xab, v1
	v_mul_lo_u16 v1, 0x87, v1
	v_lshlrev_b32_e32 v3, 3, v3
	v_cmp_gt_u32_e64 s0, 0x93, v26
	s_delay_alu instid0(VALU_DEP_4) | instskip(NEXT) | instid1(VALU_DEP_4)
	v_lshrrev_b16 v10, 9, v4
	v_lshrrev_b16 v16, 8, v1
	v_lshlrev_b32_e32 v1, 3, v26
	v_sub_nc_u32_e32 v20, v2, v3
	s_delay_alu instid0(VALU_DEP_4) | instskip(NEXT) | instid1(VALU_DEP_4)
	v_mul_lo_u16 v4, v10, 3
	v_sub_nc_u16 v17, v26, v16
	s_delay_alu instid0(VALU_DEP_4) | instskip(SKIP_1) | instid1(VALU_DEP_4)
	v_sub_nc_u32_e32 v19, v0, v1
	v_and_b32_e32 v10, 0xffff, v10
	v_sub_nc_u16 v4, v26, v4
	s_delay_alu instid0(VALU_DEP_4) | instskip(NEXT) | instid1(VALU_DEP_4)
	v_lshrrev_b16 v2, 1, v17
	v_add_nc_u32_e32 v22, 0x700, v19
	v_add_nc_u32_e32 v25, 0xe40, v19
	v_mul_u32_u24_e32 v10, 0x54, v10
	v_and_b32_e32 v18, 0xff, v4
	v_and_b32_e32 v17, 0x7f, v2
	s_delay_alu instid0(VALU_DEP_2) | instskip(NEXT) | instid1(VALU_DEP_2)
	v_mul_u32_u24_e32 v4, 6, v18
	v_add_nc_u16 v29, v17, v16
	v_lshlrev_b32_e32 v18, 2, v18
	s_delay_alu instid0(VALU_DEP_3) | instskip(NEXT) | instid1(VALU_DEP_3)
	v_lshlrev_b32_e32 v12, 2, v4
	v_lshrrev_b16 v29, 4, v29
	s_delay_alu instid0(VALU_DEP_3)
	v_add3_u32 v10, 0, v10, v18
	s_clause 0x1
	global_load_b128 v[4:7], v12, s[8:9]
	global_load_b64 v[12:13], v12, s[8:9] offset:16
	ds_load_b32 v21, v19
	ds_load_b32 v24, v19 offset:5544
	ds_load_b32 v23, v20
	ds_load_2addr_b32 v[2:3], v22 offset0:14 offset1:245
	ds_load_2addr_b32 v[16:17], v25 offset0:12 offset1:243
	v_and_b32_e32 v29, 15, v29
	global_wb scope:SCOPE_SE
	s_wait_loadcnt_dscnt 0x0
	s_barrier_signal -1
	s_barrier_wait -1
	global_inv scope:SCOPE_SE
	v_mul_lo_u16 v31, v29, 21
	s_delay_alu instid0(VALU_DEP_1) | instskip(NEXT) | instid1(VALU_DEP_1)
	v_sub_nc_u16 v31, v26, v31
	v_and_b32_e32 v31, 0xff, v31
	v_lshrrev_b32_e32 v32, 16, v24
	v_lshrrev_b32_e32 v30, 16, v23
	;; [unrolled: 1-line block ×7, first 2 shown]
	v_mul_u32_u24_e32 v18, 6, v31
	v_lshrrev_b32_e32 v38, 16, v4
	v_lshrrev_b32_e32 v39, 16, v5
	v_lshrrev_b32_e32 v40, 16, v6
	v_lshrrev_b32_e32 v41, 16, v7
	v_lshrrev_b32_e32 v42, 16, v12
	v_lshrrev_b32_e32 v43, 16, v13
	v_mul_f16_e32 v44, v38, v30
	v_mul_f16_e32 v38, v38, v23
	;; [unrolled: 1-line block ×12, first 2 shown]
	v_fmac_f16_e32 v44, v4, v23
	v_fma_f16 v4, v4, v30, -v38
	v_fmac_f16_e32 v45, v5, v2
	v_fma_f16 v2, v5, v34, -v39
	;; [unrolled: 2-line block ×3, first 2 shown]
	v_fmac_f16_e32 v47, v7, v16
	v_fmac_f16_e32 v49, v13, v24
	v_fma_f16 v5, v13, v32, -v43
	v_fma_f16 v6, v7, v36, -v41
	v_fmac_f16_e32 v48, v12, v17
	v_fma_f16 v7, v12, v37, -v42
	v_add_f16_e32 v12, v44, v49
	v_add_f16_e32 v13, v4, v5
	v_sub_f16_e32 v4, v4, v5
	v_add_f16_e32 v5, v45, v48
	v_add_f16_e32 v17, v2, v7
	v_sub_f16_e32 v16, v44, v49
	v_sub_f16_e32 v23, v45, v48
	;; [unrolled: 1-line block ×3, first 2 shown]
	v_add_f16_e32 v7, v46, v47
	v_add_f16_e32 v24, v3, v6
	v_sub_f16_e32 v30, v47, v46
	v_sub_f16_e32 v3, v6, v3
	v_add_f16_e32 v6, v5, v12
	v_add_f16_e32 v32, v17, v13
	v_sub_f16_e32 v34, v5, v12
	v_sub_f16_e32 v35, v17, v13
	;; [unrolled: 1-line block ×6, first 2 shown]
	v_add_f16_e32 v36, v30, v23
	v_add_f16_e32 v37, v3, v2
	v_sub_f16_e32 v38, v30, v23
	v_sub_f16_e32 v39, v3, v2
	;; [unrolled: 1-line block ×4, first 2 shown]
	v_add_f16_e32 v6, v7, v6
	v_add_f16_e32 v7, v24, v32
	v_sub_f16_e32 v30, v16, v30
	v_sub_f16_e32 v3, v4, v3
	v_add_f16_e32 v16, v36, v16
	v_add_f16_e32 v4, v37, v4
	v_mul_f16_e32 v12, 0x3a52, v12
	v_mul_f16_e32 v13, 0x3a52, v13
	v_mul_f16_e32 v24, 0x2b26, v5
	v_mul_f16_e32 v32, 0x2b26, v17
	v_mul_f16_e32 v36, 0x3846, v38
	v_mul_f16_e32 v37, 0x3846, v39
	v_mul_f16_e32 v38, 0xbb00, v23
	v_mul_f16_e32 v39, 0xbb00, v2
	v_add_f16_e32 v21, v6, v21
	v_add_f16_e32 v33, v7, v33
	v_fmamk_f16 v5, v5, 0x2b26, v12
	v_fmamk_f16 v17, v17, 0x2b26, v13
	v_fma_f16 v24, v34, 0x39e0, -v24
	v_fma_f16 v32, v35, 0x39e0, -v32
	;; [unrolled: 1-line block ×4, first 2 shown]
	v_fmamk_f16 v34, v30, 0xb574, v36
	v_fmamk_f16 v35, v3, 0xb574, v37
	v_fma_f16 v23, v23, 0xbb00, -v36
	v_fma_f16 v30, v30, 0x3574, -v38
	;; [unrolled: 1-line block ×3, first 2 shown]
	v_fmamk_f16 v6, v6, 0xbcab, v21
	v_fmamk_f16 v7, v7, 0xbcab, v33
	v_fma_f16 v2, v2, 0xbb00, -v37
	v_fmac_f16_e32 v34, 0xb70e, v16
	v_fmac_f16_e32 v35, 0xb70e, v4
	;; [unrolled: 1-line block ×5, first 2 shown]
	v_add_f16_e32 v5, v5, v6
	v_add_f16_e32 v16, v17, v7
	;; [unrolled: 1-line block ×5, first 2 shown]
	v_fmac_f16_e32 v2, 0xb70e, v4
	v_add_f16_e32 v7, v32, v7
	v_pack_b32_f16 v4, v21, v33
	v_add_f16_e32 v13, v35, v5
	v_sub_f16_e32 v21, v16, v34
	v_add_f16_e32 v24, v3, v6
	v_sub_f16_e32 v3, v6, v3
	;; [unrolled: 2-line block ×3, first 2 shown]
	v_sub_f16_e32 v33, v17, v2
	v_add_f16_e32 v36, v23, v7
	v_add_f16_e32 v2, v2, v17
	v_sub_f16_e32 v7, v7, v23
	v_sub_f16_e32 v5, v5, v35
	v_add_f16_e32 v12, v34, v16
	v_pack_b32_f16 v13, v13, v21
	v_pack_b32_f16 v3, v3, v6
	v_lshlrev_b32_e32 v6, 2, v18
	v_pack_b32_f16 v16, v24, v32
	v_pack_b32_f16 v17, v33, v36
	;; [unrolled: 1-line block ×4, first 2 shown]
	ds_store_2addr_b32 v10, v4, v13 offset1:3
	ds_store_2addr_b32 v10, v16, v17 offset0:6 offset1:9
	ds_store_2addr_b32 v10, v2, v3 offset0:12 offset1:15
	ds_store_b32 v10, v5 offset:72
	global_wb scope:SCOPE_SE
	s_wait_dscnt 0x0
	s_barrier_signal -1
	s_barrier_wait -1
	global_inv scope:SCOPE_SE
	s_clause 0x1
	global_load_b128 v[2:5], v6, s[8:9] offset:72
	global_load_b64 v[6:7], v6, s[8:9] offset:88
	ds_load_b32 v10, v20
	ds_load_2addr_b32 v[12:13], v22 offset0:14 offset1:245
	ds_load_2addr_b32 v[17:18], v25 offset0:12 offset1:243
	ds_load_b32 v20, v19 offset:5544
	ds_load_b32 v19, v19
	v_and_b32_e32 v16, 0xffff, v29
	v_lshlrev_b32_e32 v22, 2, v31
	global_wb scope:SCOPE_SE
	s_wait_loadcnt_dscnt 0x0
	s_barrier_signal -1
	s_barrier_wait -1
	v_mul_u32_u24_e32 v21, 0x24c, v16
	v_lshrrev_b32_e32 v16, 16, v28
	global_inv scope:SCOPE_SE
	v_add3_u32 v22, 0, v21, v22
	v_lshrrev_b32_e32 v21, 16, v10
	v_lshrrev_b32_e32 v23, 16, v12
	;; [unrolled: 1-line block ×13, first 2 shown]
	v_mul_f16_e32 v38, v32, v21
	v_mul_f16_e32 v32, v32, v10
	;; [unrolled: 1-line block ×12, first 2 shown]
	v_fmac_f16_e32 v38, v2, v10
	v_fma_f16 v2, v2, v21, -v32
	v_fmac_f16_e32 v39, v3, v12
	v_fma_f16 v3, v3, v23, -v33
	;; [unrolled: 2-line block ×6, first 2 shown]
	v_add_f16_e32 v10, v38, v43
	v_add_f16_e32 v12, v2, v7
	v_sub_f16_e32 v2, v2, v7
	v_add_f16_e32 v7, v39, v42
	v_add_f16_e32 v17, v3, v6
	v_sub_f16_e32 v13, v38, v43
	v_sub_f16_e32 v18, v39, v42
	;; [unrolled: 1-line block ×3, first 2 shown]
	v_add_f16_e32 v6, v40, v41
	v_add_f16_e32 v20, v4, v5
	v_sub_f16_e32 v21, v41, v40
	v_sub_f16_e32 v4, v5, v4
	v_add_f16_e32 v5, v7, v10
	v_add_f16_e32 v23, v17, v12
	v_sub_f16_e32 v24, v7, v10
	v_sub_f16_e32 v25, v17, v12
	;; [unrolled: 1-line block ×6, first 2 shown]
	v_add_f16_e32 v29, v21, v18
	v_add_f16_e32 v30, v4, v3
	v_sub_f16_e32 v32, v21, v18
	v_sub_f16_e32 v33, v4, v3
	;; [unrolled: 1-line block ×3, first 2 shown]
	v_add_f16_e32 v5, v6, v5
	v_add_f16_e32 v6, v20, v23
	v_sub_f16_e32 v3, v3, v2
	v_sub_f16_e32 v21, v13, v21
	;; [unrolled: 1-line block ×3, first 2 shown]
	v_add_f16_e32 v13, v29, v13
	v_add_f16_e32 v2, v30, v2
	v_mul_f16_e32 v10, 0x3a52, v10
	v_mul_f16_e32 v20, 0x3a52, v12
	;; [unrolled: 1-line block ×7, first 2 shown]
	v_add_f16_e32 v12, v5, v19
	v_add_f16_e32 v29, v6, v31
	v_mul_f16_e32 v35, 0xbb00, v3
	v_fmamk_f16 v7, v7, 0x2b26, v10
	v_fmamk_f16 v17, v17, 0x2b26, v20
	v_fma_f16 v19, v24, 0x39e0, -v23
	v_fma_f16 v23, v25, 0x39e0, -v30
	;; [unrolled: 1-line block ×4, first 2 shown]
	v_fmamk_f16 v24, v21, 0xb574, v32
	v_fmamk_f16 v25, v4, 0xb574, v33
	v_fma_f16 v34, v21, 0x3574, -v34
	v_fmamk_f16 v5, v5, 0xbcab, v12
	v_fmamk_f16 v6, v6, 0xbcab, v29
	v_fma_f16 v36, v18, 0xbb00, -v32
	v_fma_f16 v3, v3, 0xbb00, -v33
	;; [unrolled: 1-line block ×3, first 2 shown]
	v_fmac_f16_e32 v24, 0xb70e, v13
	v_fmac_f16_e32 v25, 0xb70e, v2
	;; [unrolled: 1-line block ×3, first 2 shown]
	v_add_f16_e32 v7, v7, v5
	v_add_f16_e32 v17, v17, v6
	;; [unrolled: 1-line block ×5, first 2 shown]
	v_fmac_f16_e32 v36, 0xb70e, v13
	v_fmac_f16_e32 v3, 0xb70e, v2
	;; [unrolled: 1-line block ×3, first 2 shown]
	v_add_f16_e32 v6, v23, v6
	v_add_f16_e32 v13, v25, v7
	v_sub_f16_e32 v30, v17, v24
	v_sub_f16_e32 v31, v10, v34
	v_add_f16_e32 v34, v34, v10
	v_sub_f16_e32 v10, v7, v25
	v_add_f16_e32 v35, v24, v17
	v_add_f16_e32 v20, v4, v5
	v_sub_f16_e32 v21, v18, v3
	v_add_f16_e32 v32, v36, v6
	v_add_f16_e32 v18, v3, v18
	v_sub_f16_e32 v33, v6, v36
	v_sub_f16_e32 v19, v5, v4
	v_pack_b32_f16 v2, v12, v29
	v_pack_b32_f16 v3, v13, v30
	;; [unrolled: 1-line block ×7, first 2 shown]
	ds_store_2addr_b32 v22, v2, v3 offset1:21
	ds_store_2addr_b32 v22, v4, v5 offset0:42 offset1:63
	ds_store_2addr_b32 v22, v6, v7 offset0:84 offset1:105
	ds_store_b32 v22, v17 offset:504
	global_wb scope:SCOPE_SE
	s_wait_dscnt 0x0
	s_barrier_signal -1
	s_barrier_wait -1
	global_inv scope:SCOPE_SE
                                        ; implicit-def: $vgpr37
                                        ; implicit-def: $vgpr36
                                        ; implicit-def: $vgpr38
	s_and_saveexec_b32 s1, s0
	s_cbranch_execz .LBB0_19
; %bb.18:
	v_sub_nc_u32_e32 v1, 0, v1
	s_delay_alu instid0(VALU_DEP_1) | instskip(NEXT) | instid1(VALU_DEP_1)
	v_add_nc_u32_e32 v0, v0, v1
	v_add_nc_u32_e32 v1, 0x1200, v0
	;; [unrolled: 1-line block ×4, first 2 shown]
	ds_load_2addr_b32 v[12:13], v0 offset1:147
	ds_load_b32 v36, v0 offset:5880
	v_add_nc_u32_e32 v0, 0xd00, v0
	ds_load_2addr_b32 v[16:17], v1 offset0:24 offset1:171
	ds_load_2addr_b32 v[20:21], v2 offset0:38 offset1:185
	;; [unrolled: 1-line block ×4, first 2 shown]
	s_wait_dscnt 0x5
	v_lshrrev_b32_e32 v29, 16, v12
	s_wait_dscnt 0x4
	v_lshrrev_b32_e32 v37, 16, v36
	v_lshrrev_b32_e32 v30, 16, v13
	s_wait_dscnt 0x3
	v_lshrrev_b32_e32 v27, 16, v16
	;; [unrolled: 3-line block ×5, first 2 shown]
	v_lshrrev_b32_e32 v28, 16, v11
.LBB0_19:
	s_wait_alu 0xfffe
	s_or_b32 exec_lo, exec_lo, s1
	v_cmp_gt_u32_e64 s1, 0x93, v26
	s_delay_alu instid0(VALU_DEP_1)
	s_and_b32 s1, vcc_lo, s1
	s_wait_alu 0xfffe
	s_and_saveexec_b32 s4, s1
	s_cbranch_execz .LBB0_21
; %bb.20:
	v_dual_mov_b32 v1, 0 :: v_dual_add_nc_u32 v0, 0xffffff6d, v26
	v_add_nc_u32_e32 v42, 0x126, v26
	v_mad_co_u64_u32 v[24:25], null, s16, v26, 0
	s_delay_alu instid0(VALU_DEP_3) | instskip(SKIP_1) | instid1(VALU_DEP_4)
	v_cndmask_b32_e64 v0, v0, v26, s0
	v_add_nc_u32_e32 v43, 0x1b9, v26
	v_mad_co_u64_u32 v[47:48], null, s16, v42, 0
	v_add_nc_u32_e32 v41, 0x93, v26
	s_delay_alu instid0(VALU_DEP_4) | instskip(SKIP_2) | instid1(VALU_DEP_4)
	v_mul_i32_i24_e32 v0, 10, v0
	v_mad_co_u64_u32 v[53:54], null, s17, v26, v[25:26]
	v_mul_lo_u32 v39, s3, v14
	v_mad_co_u64_u32 v[45:46], null, s16, v41, 0
	s_delay_alu instid0(VALU_DEP_4)
	v_lshlrev_b64_e32 v[0:1], 2, v[0:1]
	v_mul_lo_u32 v40, s2, v15
	v_mad_co_u64_u32 v[14:15], null, s2, v14, 0
	v_add_nc_u32_e32 v44, 0x24c, v26
	v_mad_co_u64_u32 v[49:50], null, s16, v43, 0
	v_add_co_u32 v4, vcc_lo, s8, v0
	s_wait_alu 0xfffd
	v_add_co_ci_u32_e32 v5, vcc_lo, s9, v1, vcc_lo
	v_mov_b32_e32 v25, v46
	s_clause 0x2
	global_load_b64 v[22:23], v[4:5], off offset:608
	global_load_b128 v[0:3], v[4:5], off offset:576
	global_load_b128 v[4:7], v[4:5], off offset:592
	v_mov_b32_e32 v46, v48
	v_mad_co_u64_u32 v[54:55], null, s17, v41, v[25:26]
	v_mov_b32_e32 v25, v53
	v_mad_co_u64_u32 v[51:52], null, s16, v44, 0
	v_add3_u32 v15, v15, v40, v39
	v_mov_b32_e32 v48, v50
	v_mad_co_u64_u32 v[41:42], null, s17, v42, v[46:47]
	v_lshlrev_b64_e32 v[8:9], 2, v[8:9]
	s_delay_alu instid0(VALU_DEP_4) | instskip(SKIP_4) | instid1(VALU_DEP_4)
	v_lshlrev_b64_e32 v[14:15], 2, v[14:15]
	v_mov_b32_e32 v50, v52
	v_mad_co_u64_u32 v[42:43], null, s17, v43, v[48:49]
	v_mov_b32_e32 v46, v54
	v_mov_b32_e32 v48, v41
	v_mad_co_u64_u32 v[43:44], null, s17, v44, v[50:51]
	v_add_co_u32 v44, vcc_lo, s6, v14
	s_wait_alu 0xfffd
	v_add_co_ci_u32_e32 v52, vcc_lo, s7, v15, vcc_lo
	v_lshlrev_b64_e32 v[14:15], 2, v[24:25]
	s_delay_alu instid0(VALU_DEP_3)
	v_add_co_u32 v44, vcc_lo, v44, v8
	v_mov_b32_e32 v50, v42
	s_wait_alu 0xfffd
	v_add_co_ci_u32_e32 v53, vcc_lo, v52, v9, vcc_lo
	v_lshlrev_b64_e32 v[8:9], 2, v[45:46]
	v_lshlrev_b64_e32 v[24:25], 2, v[47:48]
	;; [unrolled: 1-line block ×3, first 2 shown]
	v_add_nc_u32_e32 v56, 0x2df, v26
	v_add_co_u32 v14, vcc_lo, v44, v14
	s_wait_alu 0xfffd
	v_add_co_ci_u32_e32 v15, vcc_lo, v53, v15, vcc_lo
	v_add_co_u32 v8, vcc_lo, v44, v8
	v_mad_co_u64_u32 v[39:40], null, s16, v56, 0
	s_wait_alu 0xfffd
	v_add_co_ci_u32_e32 v9, vcc_lo, v53, v9, vcc_lo
	s_wait_loadcnt 0x2
	v_lshrrev_b32_e32 v46, 16, v23
	s_wait_loadcnt 0x1
	v_lshrrev_b32_e32 v47, 16, v0
	v_lshrrev_b32_e32 v45, 16, v22
	;; [unrolled: 1-line block ×4, first 2 shown]
	s_wait_loadcnt 0x0
	v_lshrrev_b32_e32 v52, 16, v4
	v_lshrrev_b32_e32 v55, 16, v6
	;; [unrolled: 1-line block ×3, first 2 shown]
	v_mul_f16_e32 v58, v36, v46
	v_mul_f16_e32 v59, v13, v47
	;; [unrolled: 1-line block ×3, first 2 shown]
	v_lshrrev_b32_e32 v54, 16, v5
	v_mul_f16_e32 v46, v37, v46
	v_mul_f16_e32 v60, v17, v45
	;; [unrolled: 1-line block ×12, first 2 shown]
	v_fma_f16 v37, v37, v23, -v58
	v_fma_f16 v30, v30, v0, -v59
	v_fmac_f16_e32 v47, v13, v0
	v_lshrrev_b32_e32 v50, 16, v3
	v_mul_f16_e32 v57, v27, v57
	v_mul_f16_e32 v66, v10, v54
	;; [unrolled: 1-line block ×3, first 2 shown]
	v_fma_f16 v0, v38, v22, -v60
	v_fma_f16 v13, v31, v1, -v61
	v_fmac_f16_e32 v48, v20, v1
	v_fmac_f16_e32 v45, v17, v22
	v_fma_f16 v1, v27, v7, -v62
	v_fma_f16 v17, v32, v2, -v63
	v_fmac_f16_e32 v49, v21, v2
	v_fma_f16 v2, v28, v6, -v64
	v_fmac_f16_e32 v55, v11, v6
	;; [unrolled: 2-line block ×3, first 2 shown]
	v_add_f16_e32 v4, v37, v30
	v_sub_f16_e32 v27, v30, v37
	v_add_f16_e32 v28, v12, v47
	v_add_f16_e32 v30, v29, v30
	v_mul_f16_e32 v65, v18, v50
	v_mul_f16_e32 v50, v33, v50
	v_fmac_f16_e32 v54, v10, v5
	v_add_f16_e32 v10, v0, v13
	v_sub_f16_e32 v31, v13, v0
	v_add_f16_e32 v13, v30, v13
	v_add_f16_e32 v28, v28, v48
	v_fmac_f16_e32 v57, v16, v7
	v_fma_f16 v7, v33, v3, -v65
	v_fmac_f16_e32 v50, v18, v3
	v_add_f16_e32 v16, v1, v17
	v_sub_f16_e32 v33, v17, v1
	v_add_f16_e32 v13, v13, v17
	v_add_f16_e32 v17, v28, v49
	v_fmac_f16_e32 v46, v36, v23
	v_fma_f16 v3, v35, v5, -v66
	v_add_f16_e32 v19, v2, v7
	v_sub_f16_e32 v35, v7, v2
	v_add_f16_e32 v17, v17, v50
	v_add_f16_e32 v7, v13, v7
	v_sub_f16_e32 v5, v47, v46
	v_add_f16_e32 v21, v3, v6
	v_add_f16_e32 v23, v46, v47
	v_sub_f16_e32 v38, v6, v3
	v_mul_f16_e32 v58, 0xbbad, v4
	v_mul_f16_e32 v63, 0xb482, v27
	;; [unrolled: 1-line block ×10, first 2 shown]
	v_add_f16_e32 v17, v17, v52
	v_add_f16_e32 v6, v7, v6
	v_sub_f16_e32 v11, v48, v45
	v_sub_f16_e32 v18, v49, v57
	;; [unrolled: 1-line block ×4, first 2 shown]
	v_add_f16_e32 v32, v45, v48
	v_add_f16_e32 v34, v57, v49
	;; [unrolled: 1-line block ×4, first 2 shown]
	v_mul_f16_e32 v59, 0x3abb, v10
	v_mul_f16_e32 v60, 0xb93d, v16
	;; [unrolled: 1-line block ×40, first 2 shown]
	v_fmamk_f16 v100, v23, 0xbbad, v63
	v_fmamk_f16 v101, v5, 0x3a0c, v64
	v_fmamk_f16 v105, v23, 0xb93d, v69
	v_fmamk_f16 v110, v23, 0xb08e, v75
	v_fmamk_f16 v113, v23, 0x36a6, v80
	v_fmamk_f16 v114, v23, 0x3abb, v27
	v_fma_f16 v63, v23, 0xbbad, -v63
	v_fma_f16 v69, v23, 0xb93d, -v69
	;; [unrolled: 1-line block ×5, first 2 shown]
	v_fmamk_f16 v116, v5, 0x3853, v4
	v_add_f16_e32 v17, v54, v17
	v_add_f16_e32 v3, v3, v6
	v_fmamk_f16 v96, v5, 0x3482, v58
	v_fmamk_f16 v97, v11, 0xb853, v59
	;; [unrolled: 1-line block ×15, first 2 shown]
	v_fmac_f16_e32 v58, 0xb482, v5
	v_fmac_f16_e32 v64, 0xba0c, v5
	v_fmac_f16_e32 v70, 0xbbeb, v5
	v_fmac_f16_e32 v76, 0xbb47, v5
	v_fmac_f16_e32 v4, 0xb853, v5
	v_fmamk_f16 v5, v11, 0x3b47, v10
	v_fmac_f16_e32 v59, 0x3853, v11
	v_fmac_f16_e32 v65, 0x3beb, v11
	v_fmac_f16_e32 v71, 0x3482, v11
	v_fmac_f16_e32 v77, 0xba0c, v11
	v_fmac_f16_e32 v10, 0xbb47, v11
	v_fmamk_f16 v11, v18, 0x3beb, v16
	;; [unrolled: 6-line block ×4, first 2 shown]
	v_fmac_f16_e32 v62, 0xbbeb, v22
	v_fmamk_f16 v117, v22, 0xbb47, v68
	v_fmac_f16_e32 v68, 0x3b47, v22
	v_fmamk_f16 v118, v22, 0x3a0c, v74
	;; [unrolled: 2-line block ×5, first 2 shown]
	v_fma_f16 v30, v32, 0x3abb, -v30
	v_fmamk_f16 v121, v32, 0xb08e, v48
	v_fma_f16 v48, v32, 0xb08e, -v48
	v_fmamk_f16 v122, v32, 0xbbad, v82
	;; [unrolled: 2-line block ×11, first 2 shown]
	v_fma_f16 v89, v36, 0xbbad, -v89
	v_fma_f16 v128, 0x3abb, v36, v90
	v_fma_f16 v90, v36, 0x3abb, -v90
	v_fma_f16 v129, 0xb08e, v36, v91
	;; [unrolled: 2-line block ×3, first 2 shown]
	v_fma_f16 v35, v36, 0xb93d, -v35
	v_fmamk_f16 v36, v47, 0xb08e, v92
	v_fma_f16 v92, v47, 0xb08e, -v92
	v_fma_f16 v131, 0x36a6, v47, v93
	v_fma_f16 v93, v47, 0x36a6, -v93
	v_fma_f16 v132, 0xb93d, v47, v94
	v_fma_f16 v94, v47, 0xb93d, -v94
	v_fma_f16 v133, 0x3abb, v47, v95
	v_fma_f16 v95, v47, 0x3abb, -v95
	v_fma_f16 v134, 0xbbad, v47, v38
	v_fma_f16 v38, v47, 0xbbad, -v38
	v_add_f16_e32 v47, v12, v100
	v_add_f16_e32 v100, v12, v105
	;; [unrolled: 1-line block ×34, first 2 shown]
	v_add_f16_e64 v11, v11, v130
	v_add_f16_e32 v23, v23, v102
	v_add_f16_e32 v47, v50, v107
	;; [unrolled: 1-line block ×9, first 2 shown]
	v_add_f16_e64 v11, v11, v134
	v_add_f16_e32 v7, v58, v59
	v_add_f16_e32 v10, v12, v31
	;; [unrolled: 1-line block ×13, first 2 shown]
	v_pack_b32_f16 v0, v1, v0
	v_pack_b32_f16 v1, v11, v5
	v_add_f16_e32 v6, v7, v60
	v_add_f16_e32 v12, v12, v99
	;; [unrolled: 1-line block ×5, first 2 shown]
	v_add_f16_e64 v28, v29, v128
	v_add_f16_e32 v27, v27, v115
	v_add_f16_e64 v29, v31, v129
	v_add_f16_e32 v7, v30, v32
	v_add_f16_e32 v30, v52, v66
	;; [unrolled: 1-line block ×8, first 2 shown]
	s_clause 0x1
	global_store_b32 v[14:15], v0, off
	global_store_b32 v[8:9], v1, off
	v_add_co_u32 v0, vcc_lo, v44, v24
	v_add_f16_e32 v3, v6, v61
	v_add_f16_e32 v12, v12, v20
	;; [unrolled: 1-line block ×4, first 2 shown]
	v_add_f16_e64 v2, v29, v133
	v_mov_b32_e32 v52, v43
	s_wait_alu 0xfffd
	v_add_co_ci_u32_e32 v1, vcc_lo, v53, v25, vcc_lo
	v_add_f16_e32 v6, v7, v88
	v_add_f16_e32 v7, v30, v67
	;; [unrolled: 1-line block ×3, first 2 shown]
	v_mov_b32_e32 v4, v40
	v_add_co_u32 v5, vcc_lo, v44, v41
	v_add_f16_e32 v32, v48, v84
	v_add_f16_e32 v47, v58, v72
	;; [unrolled: 1-line block ×7, first 2 shown]
	v_pack_b32_f16 v9, v2, v23
	v_lshlrev_b64_e32 v[2:3], 2, v[51:52]
	v_add_f16_e32 v29, v7, v68
	v_mad_co_u64_u32 v[7:8], null, s17, v56, v[4:5]
	v_add_f16_e32 v18, v32, v89
	v_add_f16_e32 v30, v47, v73
	;; [unrolled: 1-line block ×7, first 2 shown]
	v_add_f16_e64 v19, v22, v131
	v_add_f16_e64 v22, v28, v132
	v_add_f16_e32 v28, v6, v92
	s_wait_alu 0xfffd
	v_add_co_ci_u32_e32 v6, vcc_lo, v53, v42, vcc_lo
	v_add_co_u32 v2, vcc_lo, v44, v2
	v_add_f16_e32 v17, v18, v93
	v_add_f16_e32 v18, v30, v74
	;; [unrolled: 1-line block ×6, first 2 shown]
	v_pack_b32_f16 v4, v22, v20
	s_wait_alu 0xfffd
	v_add_co_ci_u32_e32 v3, vcc_lo, v53, v3, vcc_lo
	v_pack_b32_f16 v8, v19, v16
	global_store_b32 v[0:1], v9, off
	v_add_nc_u32_e32 v9, 0x372, v26
	v_add_nc_u32_e32 v10, 0x405, v26
	v_mov_b32_e32 v40, v7
	v_add_f16_e32 v13, v13, v34
	v_add_nc_u32_e32 v14, 0x498, v26
	s_clause 0x1
	global_store_b32 v[5:6], v4, off
	global_store_b32 v[2:3], v8, off
	v_mad_co_u64_u32 v[2:3], null, s16, v9, 0
	v_mad_co_u64_u32 v[4:5], null, s16, v10, 0
	v_lshlrev_b64_e32 v[0:1], 2, v[39:40]
	v_add_f16_e32 v13, v13, v36
	v_mad_co_u64_u32 v[6:7], null, s16, v14, 0
	s_delay_alu instid0(VALU_DEP_3) | instskip(SKIP_1) | instid1(VALU_DEP_4)
	v_add_co_u32 v0, vcc_lo, v44, v0
	v_mad_co_u64_u32 v[8:9], null, s17, v9, v[3:4]
	v_pack_b32_f16 v12, v13, v12
	v_add_nc_u32_e32 v13, 0x52b, v26
	s_wait_alu 0xfffd
	v_add_co_ci_u32_e32 v1, vcc_lo, v53, v1, vcc_lo
	v_mad_co_u64_u32 v[9:10], null, s17, v10, v[5:6]
	v_mov_b32_e32 v5, v7
	v_mad_co_u64_u32 v[10:11], null, s16, v13, 0
	global_store_b32 v[0:1], v12, off
	v_dual_mov_b32 v3, v8 :: v_dual_add_nc_u32 v12, 0x5be, v26
	v_mad_co_u64_u32 v[7:8], null, s17, v14, v[5:6]
	v_mov_b32_e32 v5, v9
	s_delay_alu instid0(VALU_DEP_3) | instskip(NEXT) | instid1(VALU_DEP_4)
	v_mad_co_u64_u32 v[8:9], null, s16, v12, 0
	v_lshlrev_b64_e32 v[0:1], 2, v[2:3]
	v_mov_b32_e32 v2, v11
	s_delay_alu instid0(VALU_DEP_4) | instskip(SKIP_2) | instid1(VALU_DEP_4)
	v_lshlrev_b64_e32 v[4:5], 2, v[4:5]
	v_lshlrev_b64_e32 v[6:7], 2, v[6:7]
	v_pack_b32_f16 v14, v28, v27
	v_mad_co_u64_u32 v[2:3], null, s17, v13, v[2:3]
	v_mov_b32_e32 v3, v9
	v_add_co_u32 v0, vcc_lo, v44, v0
	s_wait_alu 0xfffd
	v_add_co_ci_u32_e32 v1, vcc_lo, v53, v1, vcc_lo
	s_delay_alu instid0(VALU_DEP_3) | instskip(SKIP_4) | instid1(VALU_DEP_3)
	v_mad_co_u64_u32 v[12:13], null, s17, v12, v[3:4]
	v_mov_b32_e32 v11, v2
	v_add_co_u32 v2, vcc_lo, v44, v4
	s_wait_alu 0xfffd
	v_add_co_ci_u32_e32 v3, vcc_lo, v53, v5, vcc_lo
	v_lshlrev_b64_e32 v[4:5], 2, v[10:11]
	v_mov_b32_e32 v9, v12
	v_add_co_u32 v6, vcc_lo, v44, v6
	s_wait_alu 0xfffd
	v_add_co_ci_u32_e32 v7, vcc_lo, v53, v7, vcc_lo
	s_delay_alu instid0(VALU_DEP_3)
	v_lshlrev_b64_e32 v[8:9], 2, v[8:9]
	v_add_co_u32 v4, vcc_lo, v44, v4
	v_pack_b32_f16 v13, v17, v29
	s_wait_alu 0xfffd
	v_add_co_ci_u32_e32 v5, vcc_lo, v53, v5, vcc_lo
	v_pack_b32_f16 v10, v30, v18
	v_add_co_u32 v8, vcc_lo, v44, v8
	v_pack_b32_f16 v11, v32, v31
	s_wait_alu 0xfffd
	v_add_co_ci_u32_e32 v9, vcc_lo, v53, v9, vcc_lo
	v_pack_b32_f16 v12, v33, v21
	s_clause 0x4
	global_store_b32 v[0:1], v14, off
	global_store_b32 v[2:3], v13, off
	;; [unrolled: 1-line block ×5, first 2 shown]
.LBB0_21:
	s_nop 0
	s_sendmsg sendmsg(MSG_DEALLOC_VGPRS)
	s_endpgm
	.section	.rodata,"a",@progbits
	.p2align	6, 0x0
	.amdhsa_kernel fft_rtc_back_len1617_factors_3_7_7_11_wgs_231_tpt_231_half_op_CI_CI_sbrr_dirReg
		.amdhsa_group_segment_fixed_size 0
		.amdhsa_private_segment_fixed_size 0
		.amdhsa_kernarg_size 104
		.amdhsa_user_sgpr_count 2
		.amdhsa_user_sgpr_dispatch_ptr 0
		.amdhsa_user_sgpr_queue_ptr 0
		.amdhsa_user_sgpr_kernarg_segment_ptr 1
		.amdhsa_user_sgpr_dispatch_id 0
		.amdhsa_user_sgpr_private_segment_size 0
		.amdhsa_wavefront_size32 1
		.amdhsa_uses_dynamic_stack 0
		.amdhsa_enable_private_segment 0
		.amdhsa_system_sgpr_workgroup_id_x 1
		.amdhsa_system_sgpr_workgroup_id_y 0
		.amdhsa_system_sgpr_workgroup_id_z 0
		.amdhsa_system_sgpr_workgroup_info 0
		.amdhsa_system_vgpr_workitem_id 0
		.amdhsa_next_free_vgpr 135
		.amdhsa_next_free_sgpr 43
		.amdhsa_reserve_vcc 1
		.amdhsa_float_round_mode_32 0
		.amdhsa_float_round_mode_16_64 0
		.amdhsa_float_denorm_mode_32 3
		.amdhsa_float_denorm_mode_16_64 3
		.amdhsa_fp16_overflow 0
		.amdhsa_workgroup_processor_mode 1
		.amdhsa_memory_ordered 1
		.amdhsa_forward_progress 0
		.amdhsa_round_robin_scheduling 0
		.amdhsa_exception_fp_ieee_invalid_op 0
		.amdhsa_exception_fp_denorm_src 0
		.amdhsa_exception_fp_ieee_div_zero 0
		.amdhsa_exception_fp_ieee_overflow 0
		.amdhsa_exception_fp_ieee_underflow 0
		.amdhsa_exception_fp_ieee_inexact 0
		.amdhsa_exception_int_div_zero 0
	.end_amdhsa_kernel
	.text
.Lfunc_end0:
	.size	fft_rtc_back_len1617_factors_3_7_7_11_wgs_231_tpt_231_half_op_CI_CI_sbrr_dirReg, .Lfunc_end0-fft_rtc_back_len1617_factors_3_7_7_11_wgs_231_tpt_231_half_op_CI_CI_sbrr_dirReg
                                        ; -- End function
	.section	.AMDGPU.csdata,"",@progbits
; Kernel info:
; codeLenInByte = 7984
; NumSgprs: 45
; NumVgprs: 135
; ScratchSize: 0
; MemoryBound: 0
; FloatMode: 240
; IeeeMode: 1
; LDSByteSize: 0 bytes/workgroup (compile time only)
; SGPRBlocks: 5
; VGPRBlocks: 16
; NumSGPRsForWavesPerEU: 45
; NumVGPRsForWavesPerEU: 135
; Occupancy: 10
; WaveLimiterHint : 1
; COMPUTE_PGM_RSRC2:SCRATCH_EN: 0
; COMPUTE_PGM_RSRC2:USER_SGPR: 2
; COMPUTE_PGM_RSRC2:TRAP_HANDLER: 0
; COMPUTE_PGM_RSRC2:TGID_X_EN: 1
; COMPUTE_PGM_RSRC2:TGID_Y_EN: 0
; COMPUTE_PGM_RSRC2:TGID_Z_EN: 0
; COMPUTE_PGM_RSRC2:TIDIG_COMP_CNT: 0
	.text
	.p2alignl 7, 3214868480
	.fill 96, 4, 3214868480
	.type	__hip_cuid_2cd9cc21a41d34d9,@object ; @__hip_cuid_2cd9cc21a41d34d9
	.section	.bss,"aw",@nobits
	.globl	__hip_cuid_2cd9cc21a41d34d9
__hip_cuid_2cd9cc21a41d34d9:
	.byte	0                               ; 0x0
	.size	__hip_cuid_2cd9cc21a41d34d9, 1

	.ident	"AMD clang version 19.0.0git (https://github.com/RadeonOpenCompute/llvm-project roc-6.4.0 25133 c7fe45cf4b819c5991fe208aaa96edf142730f1d)"
	.section	".note.GNU-stack","",@progbits
	.addrsig
	.addrsig_sym __hip_cuid_2cd9cc21a41d34d9
	.amdgpu_metadata
---
amdhsa.kernels:
  - .args:
      - .actual_access:  read_only
        .address_space:  global
        .offset:         0
        .size:           8
        .value_kind:     global_buffer
      - .offset:         8
        .size:           8
        .value_kind:     by_value
      - .actual_access:  read_only
        .address_space:  global
        .offset:         16
        .size:           8
        .value_kind:     global_buffer
      - .actual_access:  read_only
        .address_space:  global
        .offset:         24
        .size:           8
        .value_kind:     global_buffer
      - .actual_access:  read_only
        .address_space:  global
        .offset:         32
        .size:           8
        .value_kind:     global_buffer
      - .offset:         40
        .size:           8
        .value_kind:     by_value
      - .actual_access:  read_only
        .address_space:  global
        .offset:         48
        .size:           8
        .value_kind:     global_buffer
      - .actual_access:  read_only
        .address_space:  global
        .offset:         56
        .size:           8
        .value_kind:     global_buffer
      - .offset:         64
        .size:           4
        .value_kind:     by_value
      - .actual_access:  read_only
        .address_space:  global
        .offset:         72
        .size:           8
        .value_kind:     global_buffer
      - .actual_access:  read_only
        .address_space:  global
        .offset:         80
        .size:           8
        .value_kind:     global_buffer
      - .actual_access:  read_only
        .address_space:  global
        .offset:         88
        .size:           8
        .value_kind:     global_buffer
      - .actual_access:  write_only
        .address_space:  global
        .offset:         96
        .size:           8
        .value_kind:     global_buffer
    .group_segment_fixed_size: 0
    .kernarg_segment_align: 8
    .kernarg_segment_size: 104
    .language:       OpenCL C
    .language_version:
      - 2
      - 0
    .max_flat_workgroup_size: 231
    .name:           fft_rtc_back_len1617_factors_3_7_7_11_wgs_231_tpt_231_half_op_CI_CI_sbrr_dirReg
    .private_segment_fixed_size: 0
    .sgpr_count:     45
    .sgpr_spill_count: 0
    .symbol:         fft_rtc_back_len1617_factors_3_7_7_11_wgs_231_tpt_231_half_op_CI_CI_sbrr_dirReg.kd
    .uniform_work_group_size: 1
    .uses_dynamic_stack: false
    .vgpr_count:     135
    .vgpr_spill_count: 0
    .wavefront_size: 32
    .workgroup_processor_mode: 1
amdhsa.target:   amdgcn-amd-amdhsa--gfx1201
amdhsa.version:
  - 1
  - 2
...

	.end_amdgpu_metadata
